;; amdgpu-corpus repo=zjin-lcf/HeCBench kind=compiled arch=gfx1250 opt=O3
	.amdgcn_target "amdgcn-amd-amdhsa--gfx1250"
	.amdhsa_code_object_version 6
	.text
	.protected	_Z13maskSequencesPhPKdPKhiiddddddi ; -- Begin function _Z13maskSequencesPhPKdPKhiiddddddi
	.globl	_Z13maskSequencesPhPKdPKhiiddddddi
	.p2align	8
	.type	_Z13maskSequencesPhPKdPKhiiddddddi,@function
_Z13maskSequencesPhPKdPKhiiddddddi:     ; @_Z13maskSequencesPhPKdPKhiiddddddi
; %bb.0:
	s_clause 0x1
	s_load_b32 s2, s[0:1], 0x64
	s_load_b32 s3, s[0:1], 0x50
	s_bfe_u32 s4, ttmp6, 0x4000c
	s_and_b32 s5, ttmp6, 15
	s_add_co_i32 s4, s4, 1
	s_getreg_b32 s6, hwreg(HW_REG_IB_STS2, 6, 4)
	s_mul_i32 s4, ttmp9, s4
	s_delay_alu instid0(SALU_CYCLE_1) | instskip(SKIP_4) | instid1(SALU_CYCLE_1)
	s_add_co_i32 s5, s5, s4
	s_wait_kmcnt 0x0
	s_and_b32 s2, s2, 0xffff
	s_cmp_eq_u32 s6, 0
	s_cselect_b32 s4, ttmp9, s5
	v_mad_u32 v8, s4, s2, v0
	s_mov_b32 s2, exec_lo
	s_delay_alu instid0(VALU_DEP_1)
	v_cmpx_gt_i32_e64 s3, v8
	s_cbranch_execz .LBB0_45
; %bb.1:
	s_clause 0x2
	s_load_b64 s[2:3], s[0:1], 0x30
	s_load_b64 s[6:7], s[0:1], 0x18
	s_load_b128 s[8:11], s[0:1], 0x20
	s_wait_kmcnt 0x0
	v_div_scale_f64 v[0:1], null, s[2:3], s[2:3], 1.0
	s_delay_alu instid0(VALU_DEP_1) | instskip(SKIP_1) | instid1(TRANS32_DEP_1)
	v_rcp_f64_e32 v[2:3], v[0:1]
	v_nop
	v_fma_f64 v[4:5], -v[0:1], v[2:3], 1.0
	s_delay_alu instid0(VALU_DEP_1) | instskip(NEXT) | instid1(VALU_DEP_1)
	v_fmac_f64_e32 v[2:3], v[2:3], v[4:5]
	v_fma_f64 v[4:5], -v[0:1], v[2:3], 1.0
	s_delay_alu instid0(VALU_DEP_1) | instskip(SKIP_1) | instid1(VALU_DEP_1)
	v_fmac_f64_e32 v[2:3], v[2:3], v[4:5]
	v_div_scale_f64 v[4:5], vcc_lo, 1.0, s[2:3], 1.0
	v_mul_f64_e32 v[6:7], v[4:5], v[2:3]
	s_delay_alu instid0(VALU_DEP_1) | instskip(NEXT) | instid1(VALU_DEP_1)
	v_fma_f64 v[0:1], -v[0:1], v[6:7], v[4:5]
	v_div_fmas_f64 v[0:1], v[0:1], v[2:3], v[6:7]
	v_cvt_f64_i32_e32 v[2:3], s7
	s_delay_alu instid0(VALU_DEP_2) | instskip(NEXT) | instid1(VALU_DEP_1)
	v_div_fixup_f64 v[0:1], v[0:1], s[2:3], 1.0
	v_cmp_nlg_f64_e32 vcc_lo, 1.0, v[0:1]
	s_cbranch_vccnz .LBB0_46
; %bb.2:
	s_cmp_lg_u32 s7, 0
	s_mov_b64 s[2:3], 0x3fe5555555555555
	s_cselect_b32 vcc_lo, -1, 0
	v_cndmask_b32_e32 v5, 0x3ff00000, v1, vcc_lo
	v_cndmask_b32_e32 v4, 0, v0, vcc_lo
	s_delay_alu instid0(VALU_DEP_1) | instskip(NEXT) | instid1(VALU_DEP_1)
	v_frexp_mant_f64_e64 v[6:7], |v[4:5]|
	v_cmp_gt_f64_e32 vcc_lo, s[2:3], v[6:7]
	s_mov_b64 s[2:3], 0x3fbdee674222de17
	v_cndmask_b32_e64 v9, 0, 1, vcc_lo
	s_delay_alu instid0(VALU_DEP_1) | instskip(NEXT) | instid1(VALU_DEP_1)
	v_ldexp_f64 v[6:7], v[6:7], v9
	v_add_f64_e32 v[10:11], 1.0, v[6:7]
	v_add_f64_e32 v[16:17], -1.0, v[6:7]
	v_frexp_exp_i32_f64_e32 v9, v[4:5]
	v_cmp_class_f64_e64 s4, v[4:5], 0x204
	s_delay_alu instid0(VALU_DEP_4) | instskip(SKIP_1) | instid1(VALU_DEP_3)
	v_rcp_f64_e32 v[12:13], v[10:11]
	v_add_f64_e32 v[18:19], -1.0, v[10:11]
	v_subrev_co_ci_u32_e64 v9, null, 0, v9, vcc_lo
	s_delay_alu instid0(VALU_DEP_2) | instskip(NEXT) | instid1(TRANS32_DEP_1)
	v_add_f64_e64 v[6:7], v[6:7], -v[18:19]
	v_fma_f64 v[14:15], -v[10:11], v[12:13], 1.0
	s_delay_alu instid0(VALU_DEP_1) | instskip(NEXT) | instid1(VALU_DEP_1)
	v_fmac_f64_e32 v[12:13], v[14:15], v[12:13]
	v_fma_f64 v[14:15], -v[10:11], v[12:13], 1.0
	s_delay_alu instid0(VALU_DEP_1) | instskip(NEXT) | instid1(VALU_DEP_1)
	v_fmac_f64_e32 v[12:13], v[14:15], v[12:13]
	v_mul_f64_e32 v[14:15], v[16:17], v[12:13]
	s_delay_alu instid0(VALU_DEP_1) | instskip(NEXT) | instid1(VALU_DEP_1)
	v_mul_f64_e32 v[20:21], v[10:11], v[14:15]
	v_fma_f64 v[10:11], v[14:15], v[10:11], -v[20:21]
	s_delay_alu instid0(VALU_DEP_1) | instskip(NEXT) | instid1(VALU_DEP_1)
	v_fmac_f64_e32 v[10:11], v[14:15], v[6:7]
	v_add_f64_e32 v[6:7], v[20:21], v[10:11]
	s_delay_alu instid0(VALU_DEP_1) | instskip(SKIP_1) | instid1(VALU_DEP_2)
	v_add_f64_e64 v[18:19], v[16:17], -v[6:7]
	v_add_f64_e64 v[20:21], v[6:7], -v[20:21]
	;; [unrolled: 1-line block ×3, first 2 shown]
	s_delay_alu instid0(VALU_DEP_2) | instskip(NEXT) | instid1(VALU_DEP_2)
	v_add_f64_e64 v[10:11], v[20:21], -v[10:11]
	v_add_f64_e64 v[6:7], v[16:17], -v[6:7]
	s_delay_alu instid0(VALU_DEP_1) | instskip(NEXT) | instid1(VALU_DEP_1)
	v_add_f64_e32 v[6:7], v[10:11], v[6:7]
	v_add_f64_e32 v[6:7], v[18:19], v[6:7]
	s_delay_alu instid0(VALU_DEP_1) | instskip(NEXT) | instid1(VALU_DEP_1)
	v_mul_f64_e32 v[6:7], v[12:13], v[6:7]
	v_add_f64_e32 v[10:11], v[14:15], v[6:7]
	s_delay_alu instid0(VALU_DEP_1) | instskip(SKIP_1) | instid1(VALU_DEP_2)
	v_add_f64_e64 v[12:13], v[10:11], -v[14:15]
	v_mul_f64_e32 v[14:15], v[10:11], v[10:11]
	v_add_f64_e64 v[6:7], v[6:7], -v[12:13]
	s_delay_alu instid0(VALU_DEP_2) | instskip(NEXT) | instid1(VALU_DEP_2)
	v_fma_f64 v[12:13], v[10:11], v[10:11], -v[14:15]
	v_add_f64_e32 v[16:17], v[6:7], v[6:7]
	s_delay_alu instid0(VALU_DEP_1) | instskip(NEXT) | instid1(VALU_DEP_1)
	v_fmac_f64_e32 v[12:13], v[10:11], v[16:17]
	v_add_f64_e32 v[16:17], v[14:15], v[12:13]
	s_delay_alu instid0(VALU_DEP_1) | instskip(SKIP_3) | instid1(VALU_DEP_3)
	v_fmaak_f64 v[18:19], s[2:3], v[16:17], 0x3fba6564968915a9
	v_add_f64_e64 v[14:15], v[16:17], -v[14:15]
	v_mul_f64_e32 v[24:25], v[10:11], v[16:17]
	s_mov_b64 s[2:3], 0x3fe62e42fefa39ef
	v_fmaak_f64 v[18:19], v[16:17], v[18:19], 0x3fbe25e43abe935a
	s_delay_alu instid0(VALU_DEP_1) | instskip(NEXT) | instid1(VALU_DEP_1)
	v_fmaak_f64 v[18:19], v[16:17], v[18:19], 0x3fc110ef47e6c9c2
	v_fmaak_f64 v[18:19], v[16:17], v[18:19], 0x3fc3b13bcfa74449
	s_delay_alu instid0(VALU_DEP_1) | instskip(SKIP_1) | instid1(VALU_DEP_2)
	v_fmaak_f64 v[18:19], v[16:17], v[18:19], 0x3fc745d171bf3c30
	v_add_f64_e64 v[12:13], v[12:13], -v[14:15]
	v_fmaak_f64 v[18:19], v[16:17], v[18:19], 0x3fcc71c71c7792ce
	s_delay_alu instid0(VALU_DEP_1) | instskip(NEXT) | instid1(VALU_DEP_1)
	v_fmaak_f64 v[18:19], v[16:17], v[18:19], 0x3fd24924924920da
	v_fmaak_f64 v[18:19], v[16:17], v[18:19], 0x3fd999999999999c
	s_delay_alu instid0(VALU_DEP_1) | instskip(NEXT) | instid1(VALU_DEP_1)
	v_mul_f64_e32 v[20:21], v[16:17], v[18:19]
	v_fma_f64 v[14:15], v[16:17], v[18:19], -v[20:21]
	s_delay_alu instid0(VALU_DEP_1) | instskip(NEXT) | instid1(VALU_DEP_1)
	v_fmac_f64_e32 v[14:15], v[12:13], v[18:19]
	v_add_f64_e32 v[18:19], v[20:21], v[14:15]
	s_delay_alu instid0(VALU_DEP_1) | instskip(SKIP_1) | instid1(VALU_DEP_2)
	v_add_f64_e32 v[22:23], 0x3fe5555555555555, v[18:19]
	v_add_f64_e64 v[20:21], v[18:19], -v[20:21]
	v_add_f64_e32 v[26:27], 0xbfe5555555555555, v[22:23]
	s_delay_alu instid0(VALU_DEP_2) | instskip(SKIP_1) | instid1(VALU_DEP_3)
	v_add_f64_e64 v[14:15], v[14:15], -v[20:21]
	v_fma_f64 v[20:21], v[16:17], v[10:11], -v[24:25]
	v_add_f64_e64 v[18:19], v[18:19], -v[26:27]
	s_delay_alu instid0(VALU_DEP_3) | instskip(NEXT) | instid1(VALU_DEP_3)
	v_add_f64_e32 v[14:15], 0x3c8543b0d5df274d, v[14:15]
	v_fmac_f64_e32 v[20:21], v[16:17], v[6:7]
	v_ldexp_f64 v[6:7], v[6:7], 1
	s_delay_alu instid0(VALU_DEP_3) | instskip(NEXT) | instid1(VALU_DEP_3)
	v_add_f64_e32 v[14:15], v[14:15], v[18:19]
	v_fmac_f64_e32 v[20:21], v[12:13], v[10:11]
	v_ldexp_f64 v[10:11], v[10:11], 1
	s_delay_alu instid0(VALU_DEP_3) | instskip(NEXT) | instid1(VALU_DEP_3)
	v_add_f64_e32 v[12:13], v[22:23], v[14:15]
	v_add_f64_e32 v[16:17], v[24:25], v[20:21]
	s_delay_alu instid0(VALU_DEP_2) | instskip(NEXT) | instid1(VALU_DEP_2)
	v_add_f64_e64 v[18:19], v[22:23], -v[12:13]
	v_mul_f64_e32 v[22:23], v[16:17], v[12:13]
	v_add_f64_e64 v[24:25], v[16:17], -v[24:25]
	s_delay_alu instid0(VALU_DEP_3) | instskip(NEXT) | instid1(VALU_DEP_3)
	v_add_f64_e32 v[14:15], v[14:15], v[18:19]
	v_fma_f64 v[18:19], v[16:17], v[12:13], -v[22:23]
	s_delay_alu instid0(VALU_DEP_3) | instskip(NEXT) | instid1(VALU_DEP_2)
	v_add_f64_e64 v[20:21], v[20:21], -v[24:25]
	v_fmac_f64_e32 v[18:19], v[16:17], v[14:15]
	s_delay_alu instid0(VALU_DEP_1) | instskip(SKIP_1) | instid1(VALU_DEP_2)
	v_fmac_f64_e32 v[18:19], v[20:21], v[12:13]
	v_cvt_f64_i32_e32 v[20:21], v9
	v_add_f64_e32 v[12:13], v[22:23], v[18:19]
	s_delay_alu instid0(VALU_DEP_1) | instskip(SKIP_1) | instid1(VALU_DEP_2)
	v_add_f64_e32 v[14:15], v[10:11], v[12:13]
	v_add_f64_e64 v[16:17], v[12:13], -v[22:23]
	v_add_f64_e64 v[10:11], v[14:15], -v[10:11]
	s_delay_alu instid0(VALU_DEP_2) | instskip(SKIP_1) | instid1(VALU_DEP_3)
	v_add_f64_e64 v[16:17], v[18:19], -v[16:17]
	v_mul_f64_e32 v[18:19], 0x3fe62e42fefa39ef, v[20:21]
	v_add_f64_e64 v[10:11], v[12:13], -v[10:11]
	s_delay_alu instid0(VALU_DEP_3) | instskip(NEXT) | instid1(VALU_DEP_3)
	v_add_f64_e32 v[6:7], v[6:7], v[16:17]
	v_fma_f64 v[12:13], v[20:21], s[2:3], -v[18:19]
	s_mov_b64 s[2:3], 0x3e5ade156a5dcb37
	s_delay_alu instid0(VALU_DEP_2) | instskip(NEXT) | instid1(VALU_DEP_2)
	v_add_f64_e32 v[6:7], v[6:7], v[10:11]
	v_fmamk_f64 v[10:11], v[20:21], 0x3c7abc9e3b39803f, v[12:13]
	s_delay_alu instid0(VALU_DEP_1) | instskip(NEXT) | instid1(VALU_DEP_3)
	v_add_f64_e32 v[12:13], v[18:19], v[10:11]
	v_add_f64_e32 v[16:17], v[14:15], v[6:7]
	s_delay_alu instid0(VALU_DEP_2) | instskip(NEXT) | instid1(VALU_DEP_2)
	v_add_f64_e64 v[18:19], v[12:13], -v[18:19]
	v_add_f64_e32 v[20:21], v[12:13], v[16:17]
	v_add_f64_e64 v[14:15], v[16:17], -v[14:15]
	s_delay_alu instid0(VALU_DEP_3) | instskip(NEXT) | instid1(VALU_DEP_3)
	v_add_f64_e64 v[10:11], v[10:11], -v[18:19]
	v_add_f64_e64 v[22:23], v[20:21], -v[12:13]
	s_delay_alu instid0(VALU_DEP_3) | instskip(NEXT) | instid1(VALU_DEP_2)
	v_add_f64_e64 v[6:7], v[6:7], -v[14:15]
	v_add_f64_e64 v[24:25], v[20:21], -v[22:23]
	;; [unrolled: 1-line block ×3, first 2 shown]
	s_delay_alu instid0(VALU_DEP_3) | instskip(NEXT) | instid1(VALU_DEP_3)
	v_add_f64_e32 v[16:17], v[10:11], v[6:7]
	v_add_f64_e64 v[12:13], v[12:13], -v[24:25]
	s_delay_alu instid0(VALU_DEP_1) | instskip(NEXT) | instid1(VALU_DEP_3)
	v_add_f64_e32 v[12:13], v[14:15], v[12:13]
	v_add_f64_e64 v[14:15], v[16:17], -v[10:11]
	s_delay_alu instid0(VALU_DEP_2) | instskip(NEXT) | instid1(VALU_DEP_2)
	v_add_f64_e32 v[12:13], v[16:17], v[12:13]
	v_add_f64_e64 v[16:17], v[16:17], -v[14:15]
	v_add_f64_e64 v[6:7], v[6:7], -v[14:15]
	s_delay_alu instid0(VALU_DEP_3) | instskip(NEXT) | instid1(VALU_DEP_3)
	v_add_f64_e32 v[18:19], v[20:21], v[12:13]
	v_add_f64_e64 v[10:11], v[10:11], -v[16:17]
	s_delay_alu instid0(VALU_DEP_2) | instskip(NEXT) | instid1(VALU_DEP_2)
	v_add_f64_e64 v[14:15], v[18:19], -v[20:21]
	v_add_f64_e32 v[6:7], v[6:7], v[10:11]
	s_delay_alu instid0(VALU_DEP_2) | instskip(NEXT) | instid1(VALU_DEP_1)
	v_add_f64_e64 v[10:11], v[12:13], -v[14:15]
	v_add_f64_e32 v[6:7], v[6:7], v[10:11]
	s_delay_alu instid0(VALU_DEP_1) | instskip(NEXT) | instid1(VALU_DEP_1)
	v_add_f64_e32 v[10:11], v[18:19], v[6:7]
	v_add_f64_e64 v[12:13], v[10:11], -v[18:19]
	v_mul_f64_e32 v[14:15], v[10:11], v[2:3]
	s_delay_alu instid0(VALU_DEP_2) | instskip(NEXT) | instid1(VALU_DEP_2)
	v_add_f64_e64 v[6:7], v[6:7], -v[12:13]
	v_fma_f64 v[10:11], v[2:3], v[10:11], -v[14:15]
	v_cmp_class_f64_e64 vcc_lo, v[14:15], 0x204
	s_delay_alu instid0(VALU_DEP_2) | instskip(NEXT) | instid1(VALU_DEP_1)
	v_fmac_f64_e32 v[10:11], v[2:3], v[6:7]
	v_add_f64_e32 v[6:7], v[14:15], v[10:11]
	s_delay_alu instid0(VALU_DEP_1) | instskip(SKIP_1) | instid1(VALU_DEP_2)
	v_dual_cndmask_b32 v13, v7, v15 :: v_dual_cndmask_b32 v12, v6, v14
	v_add_f64_e64 v[6:7], v[6:7], -v[14:15]
	v_mul_f64_e32 v[16:17], 0x3ff71547652b82fe, v[12:13]
	v_cmp_neq_f64_e64 vcc_lo, 0x7ff00000, |v[12:13]|
	s_delay_alu instid0(VALU_DEP_3) | instskip(NEXT) | instid1(VALU_DEP_3)
	v_add_f64_e64 v[6:7], v[10:11], -v[6:7]
	v_rndne_f64_e32 v[16:17], v[16:17]
	s_delay_alu instid0(VALU_DEP_2) | instskip(NEXT) | instid1(VALU_DEP_2)
	v_dual_cndmask_b32 v7, 0, v7 :: v_dual_cndmask_b32 v6, 0, v6
	v_fmamk_f64 v[18:19], v[16:17], 0xbfe62e42fefa39ef, v[12:13]
	v_cvt_i32_f64_e32 v9, v[16:17]
	s_delay_alu instid0(VALU_DEP_2) | instskip(NEXT) | instid1(VALU_DEP_1)
	v_fmamk_f64 v[18:19], v[16:17], 0xbc7abc9e3b39803f, v[18:19]
	v_fmaak_f64 v[20:21], s[2:3], v[18:19], 0x3e928af3fca7ab0c
	v_cmp_nlt_f64_e64 s2, 0x40900000, v[12:13]
	v_cmp_ngt_f64_e64 s3, 0xc090cc00, v[12:13]
	s_delay_alu instid0(VALU_DEP_3) | instskip(NEXT) | instid1(VALU_DEP_1)
	v_fmaak_f64 v[20:21], v[18:19], v[20:21], 0x3ec71dee623fde64
	v_fmaak_f64 v[20:21], v[18:19], v[20:21], 0x3efa01997c89e6b0
	s_delay_alu instid0(VALU_DEP_1) | instskip(NEXT) | instid1(VALU_DEP_1)
	v_fmaak_f64 v[20:21], v[18:19], v[20:21], 0x3f2a01a014761f6e
	v_fmaak_f64 v[20:21], v[18:19], v[20:21], 0x3f56c16c1852b7b0
	s_and_b32 vcc_lo, s3, s2
	s_delay_alu instid0(VALU_DEP_1) | instskip(NEXT) | instid1(VALU_DEP_1)
	v_fmaak_f64 v[20:21], v[18:19], v[20:21], 0x3f81111111122322
	v_fmaak_f64 v[20:21], v[18:19], v[20:21], 0x3fa55555555502a1
	s_delay_alu instid0(VALU_DEP_1) | instskip(NEXT) | instid1(VALU_DEP_1)
	v_fmaak_f64 v[20:21], v[18:19], v[20:21], 0x3fc5555555555511
	v_fmaak_f64 v[20:21], v[18:19], v[20:21], 0x3fe000000000000b
	s_delay_alu instid0(VALU_DEP_1) | instskip(NEXT) | instid1(VALU_DEP_1)
	v_fma_f64 v[20:21], v[18:19], v[20:21], 1.0
	v_fma_f64 v[16:17], v[18:19], v[20:21], 1.0
	s_delay_alu instid0(VALU_DEP_1) | instskip(SKIP_1) | instid1(VALU_DEP_2)
	v_ldexp_f64 v[14:15], v[16:17], v9
	v_mul_f64_e32 v[16:17], 0.5, v[2:3]
	v_cndmask_b32_e64 v9, 0x7ff00000, v15, s2
	s_delay_alu instid0(VALU_DEP_2) | instskip(NEXT) | instid1(VALU_DEP_4)
	v_trunc_f64_e32 v[10:11], v[16:17]
	v_cndmask_b32_e32 v12, 0, v14, vcc_lo
	v_cmp_eq_f64_e32 vcc_lo, 0, v[4:5]
	s_delay_alu instid0(VALU_DEP_4) | instskip(NEXT) | instid1(VALU_DEP_1)
	v_cndmask_b32_e64 v13, 0, v9, s3
	v_fma_f64 v[6:7], v[12:13], v[6:7], v[12:13]
	v_cmp_class_f64_e64 s3, v[12:13], 0x204
	v_cmp_neq_f64_e64 s2, v[10:11], v[16:17]
	s_or_b32 s4, vcc_lo, s4
	s_cmp_lt_i32 s7, 0
	v_dual_cndmask_b32 v7, v7, v13, s3 :: v_dual_cndmask_b32 v6, v6, v12, s3
	v_cndmask_b32_e64 v4, 0x3ff00000, v5, s2
	v_cndmask_b32_e64 v5, 0, v5, s2
	s_cselect_b32 s2, -1, 0
	s_delay_alu instid0(SALU_CYCLE_1) | instskip(NEXT) | instid1(VALU_DEP_2)
	s_xor_b32 s2, s2, vcc_lo
	v_bfi_b32 v7, 0x7fffffff, v7, v4
	s_and_b32 s2, s2, exec_lo
	s_cselect_b32 s2, 0, 0x7ff00000
	v_cndmask_b32_e64 v4, v6, 0, s4
	v_bfi_b32 v5, 0x7fffffff, s2, v5
	s_delay_alu instid0(VALU_DEP_1) | instskip(SKIP_1) | instid1(VALU_DEP_2)
	v_cndmask_b32_e64 v5, v7, v5, s4
	v_add_f64_e64 v[6:7], -v[0:1], 1.0
	v_add_f64_e64 v[4:5], -v[4:5], 1.0
	s_delay_alu instid0(VALU_DEP_1) | instskip(NEXT) | instid1(VALU_DEP_1)
	v_div_scale_f64 v[10:11], null, v[4:5], v[4:5], v[6:7]
	v_rcp_f64_e32 v[12:13], v[10:11]
	v_nop
	s_delay_alu instid0(TRANS32_DEP_1) | instskip(NEXT) | instid1(VALU_DEP_1)
	v_fma_f64 v[14:15], -v[10:11], v[12:13], 1.0
	v_fmac_f64_e32 v[12:13], v[12:13], v[14:15]
	s_delay_alu instid0(VALU_DEP_1) | instskip(NEXT) | instid1(VALU_DEP_1)
	v_fma_f64 v[14:15], -v[10:11], v[12:13], 1.0
	v_fmac_f64_e32 v[12:13], v[12:13], v[14:15]
	v_div_scale_f64 v[14:15], vcc_lo, v[6:7], v[4:5], v[6:7]
	s_delay_alu instid0(VALU_DEP_1) | instskip(NEXT) | instid1(VALU_DEP_1)
	v_mul_f64_e32 v[16:17], v[14:15], v[12:13]
	v_fma_f64 v[10:11], -v[10:11], v[16:17], v[14:15]
	s_delay_alu instid0(VALU_DEP_1) | instskip(NEXT) | instid1(VALU_DEP_1)
	v_div_fmas_f64 v[10:11], v[10:11], v[12:13], v[16:17]
	v_div_fixup_f64 v[4:5], v[10:11], v[4:5], v[6:7]
	s_cbranch_execnz .LBB0_4
.LBB0_3:
	s_delay_alu instid0(VALU_DEP_3) | instskip(NEXT) | instid1(VALU_DEP_1)
	v_div_scale_f64 v[4:5], null, v[2:3], v[2:3], 1.0
	v_rcp_f64_e32 v[6:7], v[4:5]
	v_nop
	s_delay_alu instid0(TRANS32_DEP_1) | instskip(NEXT) | instid1(VALU_DEP_1)
	v_fma_f64 v[10:11], -v[4:5], v[6:7], 1.0
	v_fmac_f64_e32 v[6:7], v[6:7], v[10:11]
	s_delay_alu instid0(VALU_DEP_1) | instskip(NEXT) | instid1(VALU_DEP_1)
	v_fma_f64 v[10:11], -v[4:5], v[6:7], 1.0
	v_fmac_f64_e32 v[6:7], v[6:7], v[10:11]
	v_div_scale_f64 v[10:11], vcc_lo, 1.0, v[2:3], 1.0
	s_delay_alu instid0(VALU_DEP_1) | instskip(NEXT) | instid1(VALU_DEP_1)
	v_mul_f64_e32 v[12:13], v[10:11], v[6:7]
	v_fma_f64 v[4:5], -v[4:5], v[12:13], v[10:11]
	s_delay_alu instid0(VALU_DEP_1) | instskip(NEXT) | instid1(VALU_DEP_1)
	v_div_fmas_f64 v[4:5], v[4:5], v[6:7], v[12:13]
	v_div_fixup_f64 v[4:5], v[4:5], v[2:3], 1.0
.LBB0_4:
	s_cmp_gt_i32 s7, 0
	s_mov_b32 s4, -1
	s_cselect_b32 s12, -1, 0
	s_cmp_lt_i32 s7, 1
	s_cbranch_scc0 .LBB0_6
; %bb.5:
	s_mov_b32 s4, 0
.LBB0_6:
	s_delay_alu instid0(VALU_DEP_1)
	v_mul_f64_e32 v[6:7], s[8:9], v[4:5]
	s_load_b64 s[2:3], s[0:1], 0x8
	s_and_not1_b32 vcc_lo, exec_lo, s4
	s_cbranch_vccnz .LBB0_11
; %bb.7:
	s_delay_alu instid0(VALU_DEP_1)
	v_mov_b64_e32 v[2:3], v[6:7]
	s_movk_i32 s4, 0x90
	s_mov_b32 s5, s7
.LBB0_8:                                ; =>This Inner Loop Header: Depth=1
	scratch_store_b64 off, v[2:3], s4
	s_wait_xcnt 0x0
	v_mul_f64_e32 v[2:3], v[0:1], v[2:3]
	s_add_co_i32 s5, s5, -1
	s_add_co_i32 s4, s4, 8
	s_cmp_eq_u32 s5, 0
	s_cbranch_scc0 .LBB0_8
; %bb.9:
	v_mov_b64_e32 v[0:1], 0
	s_movk_i32 s4, 0x230
	s_mov_b32 s5, s7
.LBB0_10:                               ; =>This Inner Loop Header: Depth=1
	s_delay_alu instid0(SALU_CYCLE_1)
	s_add_co_i32 s5, s5, -1
	scratch_store_b64 off, v[0:1], s4
	s_wait_xcnt 0x0
	s_add_co_i32 s4, s4, 8
	s_cmp_eq_u32 s5, 0
	s_cbranch_scc0 .LBB0_10
.LBB0_11:
	v_add_f64_e64 v[2:3], -s[8:9], 1.0
	v_add_f64_e64 v[4:5], -s[10:11], 1.0
	s_load_b64 s[8:9], s[0:1], 0x0
	v_lshl_add_u32 v8, v8, 5, v8
	v_mov_b64_e32 v[10:11], 1.0
	s_cmp_gt_i32 s6, 0
	s_mov_b32 s5, 0
	s_cselect_b32 s13, -1, 0
	v_ashrrev_i32_e32 v9, 31, v8
	s_cmp_lt_i32 s6, 1
	s_wait_kmcnt 0x0
	s_delay_alu instid0(VALU_DEP_1)
	v_add_nc_u64_e32 v[0:1], s[8:9], v[8:9]
	s_cbranch_scc1 .LBB0_24
; %bb.12:
	v_mov_b64_e32 v[10:11], 1.0
	s_lshl_b32 s4, s7, 3
	s_movk_i32 s15, 0x228
	s_add_co_i32 s14, s4, 0x90
	s_mov_b32 s4, s5
	s_branch .LBB0_15
.LBB0_13:                               ;   in Loop: Header=BB0_15 Depth=1
	s_delay_alu instid0(VALU_DEP_1)
	v_mov_b64_e32 v[10:11], v[12:13]
.LBB0_14:                               ;   in Loop: Header=BB0_15 Depth=1
	s_delay_alu instid0(VALU_DEP_1) | instskip(SKIP_2) | instid1(SALU_CYCLE_1)
	v_cvt_f32_f64_e32 v12, v[10:11]
	s_lshl_b32 s16, s4, 2
	s_add_co_i32 s4, s4, 1
	s_cmp_eq_u32 s4, s6
	scratch_store_b32 off, v12, s16
	s_cbranch_scc1 .LBB0_24
.LBB0_15:                               ; =>This Loop Header: Depth=1
                                        ;     Child Loop BB0_17 Depth 2
                                        ;     Child Loop BB0_22 Depth 2
	s_wait_xcnt 0x0
	s_min_i32 s16, s7, s4
	s_cmp_eq_u32 s4, 0
	s_cbranch_scc1 .LBB0_18
; %bb.16:                               ;   in Loop: Header=BB0_15 Depth=1
	v_add_nc_u64_e32 v[12:13], s[4:5], v[0:1]
	s_lshl_b32 s18, s16, 3
	s_sub_co_i32 s19, s4, s16
	s_sub_co_i32 s17, s14, s18
	s_add_co_i32 s18, s15, s18
	s_mov_b32 s20, 0
	global_load_u8 v12, v[12:13], off
	s_wait_loadcnt 0x0
	v_mul_lo_u32 v14, s6, v12
	s_wait_xcnt 0x0
	v_mov_b64_e32 v[12:13], 0
.LBB0_17:                               ;   Parent Loop BB0_15 Depth=1
                                        ; =>  This Inner Loop Header: Depth=2
	s_add_co_i32 s22, s19, s20
	s_add_co_i32 s20, s20, 1
	s_ashr_i32 s23, s22, 31
	s_delay_alu instid0(SALU_CYCLE_1)
	v_add_nc_u64_e32 v[16:17], s[22:23], v[0:1]
	global_load_u8 v15, v[16:17], off
	scratch_load_b64 v[18:19], off, s17
	scratch_load_b64 v[20:21], off, s18
	s_wait_xcnt 0x1
	s_add_co_i32 s17, s17, 8
	s_wait_loadcnt 0x2
	v_add_nc_u32_e32 v15, v14, v15
	s_wait_loadcnt 0x1
	v_mul_f64_e32 v[18:19], v[10:11], v[18:19]
	s_wait_loadcnt 0x0
	v_add_f64_e32 v[12:13], v[12:13], v[20:21]
	global_load_b64 v[16:17], v15, s[2:3] scale_offset
	v_fmac_f64_e32 v[18:19], v[4:5], v[20:21]
	s_wait_loadcnt 0x0
	s_delay_alu instid0(VALU_DEP_1)
	v_mul_f64_e32 v[16:17], v[16:17], v[18:19]
	scratch_store_b64 off, v[16:17], s18
	s_wait_xcnt 0x0
	s_add_co_i32 s18, s18, -8
	s_cmp_eq_u32 s4, s20
	s_cbranch_scc0 .LBB0_17
	s_branch .LBB0_19
.LBB0_18:                               ;   in Loop: Header=BB0_15 Depth=1
	v_mov_b64_e32 v[12:13], 0
.LBB0_19:                               ;   in Loop: Header=BB0_15 Depth=1
	s_delay_alu instid0(VALU_DEP_1) | instskip(SKIP_1) | instid1(SALU_CYCLE_1)
	v_mul_f64_e32 v[12:13], s[10:11], v[12:13]
	s_and_b32 s17, s4, 15
	s_cmp_eq_u32 s17, 15
	s_delay_alu instid0(VALU_DEP_1)
	v_fmac_f64_e32 v[12:13], v[2:3], v[10:11]
	s_cbranch_scc0 .LBB0_13
; %bb.20:                               ;   in Loop: Header=BB0_15 Depth=1
	s_delay_alu instid0(VALU_DEP_1) | instskip(SKIP_1) | instid1(SALU_CYCLE_1)
	v_div_scale_f64 v[10:11], null, v[12:13], v[12:13], 1.0
	s_lshr_b32 s17, s4, 1
	s_and_b32 s17, s17, 0x7ffffff8
	s_delay_alu instid0(SALU_CYCLE_1) | instskip(SKIP_2) | instid1(TRANS32_DEP_1)
	s_addk_co_i32 s17, 0x220
	v_rcp_f64_e32 v[14:15], v[10:11]
	v_nop
	v_fma_f64 v[16:17], -v[10:11], v[14:15], 1.0
	s_delay_alu instid0(VALU_DEP_1) | instskip(NEXT) | instid1(VALU_DEP_1)
	v_fmac_f64_e32 v[14:15], v[14:15], v[16:17]
	v_fma_f64 v[16:17], -v[10:11], v[14:15], 1.0
	s_delay_alu instid0(VALU_DEP_1) | instskip(SKIP_1) | instid1(VALU_DEP_1)
	v_fmac_f64_e32 v[14:15], v[14:15], v[16:17]
	v_div_scale_f64 v[16:17], vcc_lo, 1.0, v[12:13], 1.0
	v_mul_f64_e32 v[18:19], v[16:17], v[14:15]
	s_delay_alu instid0(VALU_DEP_1) | instskip(NEXT) | instid1(VALU_DEP_1)
	v_fma_f64 v[10:11], -v[10:11], v[18:19], v[16:17]
	v_div_fmas_f64 v[10:11], v[10:11], v[14:15], v[18:19]
	s_and_not1_b32 vcc_lo, exec_lo, s12
	s_delay_alu instid0(VALU_DEP_1)
	v_div_fixup_f64 v[10:11], v[10:11], v[12:13], 1.0
	scratch_store_b64 off, v[10:11], s17
	s_cbranch_vccnz .LBB0_23
; %bb.21:                               ;   in Loop: Header=BB0_15 Depth=1
	s_max_i32 s16, s16, 1
	s_wait_xcnt 0x0
	s_movk_i32 s17, 0x230
.LBB0_22:                               ;   Parent Loop BB0_15 Depth=1
                                        ; =>  This Inner Loop Header: Depth=2
	scratch_load_b64 v[12:13], off, s17
	s_add_co_i32 s16, s16, -1
	s_wait_loadcnt 0x0
	v_mul_f64_e32 v[12:13], v[10:11], v[12:13]
	scratch_store_b64 off, v[12:13], s17
	s_wait_xcnt 0x0
	s_add_co_i32 s17, s17, 8
	s_cmp_lg_u32 s16, 0
	s_cbranch_scc1 .LBB0_22
.LBB0_23:                               ;   in Loop: Header=BB0_15 Depth=1
	s_wait_xcnt 0x0
	v_mov_b64_e32 v[10:11], 1.0
	s_branch .LBB0_14
.LBB0_24:
	s_load_b64 s[4:5], s[0:1], 0x10
	v_mov_b64_e32 v[12:13], 0
	s_and_not1_b32 vcc_lo, exec_lo, s12
	s_cbranch_vccnz .LBB0_27
; %bb.25:
	v_mov_b64_e32 v[14:15], s[10:11]
	s_wait_xcnt 0x0
	s_movk_i32 s0, 0x230
	s_mov_b32 s1, s7
.LBB0_26:                               ; =>This Inner Loop Header: Depth=1
	scratch_load_b64 v[16:17], off, s0
	s_add_co_i32 s1, s1, -1
	scratch_store_b64 off, v[14:15], s0
	s_wait_xcnt 0x0
	s_add_co_i32 s0, s0, 8
	s_cmp_eq_u32 s1, 0
	s_wait_loadcnt 0x0
	v_add_f64_e32 v[12:13], v[12:13], v[16:17]
	s_cbranch_scc0 .LBB0_26
.LBB0_27:
	s_and_not1_b32 vcc_lo, exec_lo, s13
	s_cbranch_vccnz .LBB0_45
; %bb.28:
	s_delay_alu instid0(VALU_DEP_1) | instskip(SKIP_4) | instid1(VALU_DEP_2)
	v_mul_f64_e32 v[12:13], s[10:11], v[12:13]
	v_div_scale_f64 v[14:15], null, v[6:7], v[6:7], 1.0
	s_wait_xcnt 0x0
	s_ashr_i32 s1, s6, 31
	s_mov_b32 s12, s6
	v_fmac_f64_e32 v[12:13], v[2:3], v[10:11]
	s_delay_alu instid0(VALU_DEP_2) | instskip(NEXT) | instid1(VALU_DEP_1)
	v_rcp_f64_e32 v[18:19], v[14:15]
	v_div_scale_f64 v[10:11], null, v[12:13], v[12:13], 1.0
	v_div_scale_f64 v[24:25], vcc_lo, 1.0, v[12:13], 1.0
	s_delay_alu instid0(TRANS32_DEP_1) | instskip(NEXT) | instid1(VALU_DEP_3)
	v_fma_f64 v[22:23], -v[14:15], v[18:19], 1.0
	v_rcp_f64_e32 v[16:17], v[10:11]
	s_delay_alu instid0(VALU_DEP_1) | instskip(NEXT) | instid1(TRANS32_DEP_1)
	v_fmac_f64_e32 v[18:19], v[18:19], v[22:23]
	v_fma_f64 v[20:21], -v[10:11], v[16:17], 1.0
	s_delay_alu instid0(VALU_DEP_2) | instskip(NEXT) | instid1(VALU_DEP_2)
	v_fma_f64 v[22:23], -v[14:15], v[18:19], 1.0
	v_fmac_f64_e32 v[16:17], v[16:17], v[20:21]
	s_delay_alu instid0(VALU_DEP_2) | instskip(NEXT) | instid1(VALU_DEP_2)
	v_fmac_f64_e32 v[18:19], v[18:19], v[22:23]
	v_fma_f64 v[20:21], -v[10:11], v[16:17], 1.0
	s_delay_alu instid0(VALU_DEP_1) | instskip(SKIP_1) | instid1(VALU_DEP_2)
	v_fmac_f64_e32 v[16:17], v[16:17], v[20:21]
	v_div_scale_f64 v[20:21], s0, 1.0, v[6:7], 1.0
	v_mul_f64_e32 v[22:23], v[24:25], v[16:17]
	s_delay_alu instid0(VALU_DEP_2) | instskip(NEXT) | instid1(VALU_DEP_2)
	v_mul_f64_e32 v[26:27], v[20:21], v[18:19]
	v_fma_f64 v[10:11], -v[10:11], v[22:23], v[24:25]
	s_delay_alu instid0(VALU_DEP_2) | instskip(NEXT) | instid1(VALU_DEP_2)
	v_fma_f64 v[14:15], -v[14:15], v[26:27], v[20:21]
	v_div_fmas_f64 v[10:11], v[10:11], v[16:17], v[22:23]
	s_mov_b32 vcc_lo, s0
	s_mov_b32 s0, s6
	s_delay_alu instid0(VALU_DEP_2)
	v_div_fmas_f64 v[14:15], v[14:15], v[18:19], v[26:27]
	s_add_nc_u64 s[0:1], s[8:9], s[0:1]
	s_add_co_i32 s8, s6, -1
	v_add_nc_u64_e32 v[8:9], s[0:1], v[8:9]
	s_movk_i32 s9, 0x88
	s_mov_b32 s1, 0
	s_delay_alu instid0(VALU_DEP_1) | instskip(NEXT) | instid1(VALU_DEP_4)
	v_add_nc_u64_e32 v[8:9], -2, v[8:9]
	v_div_fixup_f64 v[10:11], v[10:11], v[12:13], 1.0
	v_mov_b64_e32 v[12:13], v[2:3]
	v_div_fixup_f64 v[6:7], v[14:15], v[6:7], 1.0
	s_branch .LBB0_30
.LBB0_29:                               ;   in Loop: Header=BB0_30 Depth=1
	s_delay_alu instid0(VALU_DEP_1) | instskip(SKIP_4) | instid1(VALU_DEP_2)
	v_mul_f64_e32 v[14:15], v[14:15], v[16:17]
	v_add_nc_u64_e32 v[8:9], -1, v[8:9]
	s_add_co_i32 s8, s8, -1
	s_cmp_gt_u32 s12, 1
	s_mov_b32 s12, s0
	v_fmac_f64_e32 v[14:15], v[2:3], v[12:13]
	s_delay_alu instid0(VALU_DEP_1)
	v_mov_b64_e32 v[12:13], v[14:15]
	s_cbranch_scc0 .LBB0_41
.LBB0_30:                               ; =>This Loop Header: Depth=1
                                        ;     Child Loop BB0_33 Depth 2
                                        ;     Child Loop BB0_37 Depth 2
	s_lshl_b32 s15, s12, 2
	s_add_co_i32 s0, s12, -1
	scratch_load_b32 v14, off, s15 offset:-4
	s_and_b32 s16, s0, 15
	s_wait_xcnt 0x1
	s_min_i32 s13, s7, s8
	s_min_i32 s14, s7, s0
	s_cmp_lg_u32 s16, 15
	s_wait_loadcnt 0x0
	v_cvt_f64_f32_e32 v[14:15], v14
	s_delay_alu instid0(VALU_DEP_1) | instskip(NEXT) | instid1(VALU_DEP_1)
	v_mul_f64_e32 v[14:15], v[12:13], v[14:15]
	v_mul_f64_e32 v[14:15], v[10:11], v[14:15]
	s_delay_alu instid0(VALU_DEP_1) | instskip(NEXT) | instid1(VALU_DEP_1)
	v_cvt_f32_f64_e32 v14, v[14:15]
	v_sub_f32_e32 v14, 1.0, v14
	scratch_store_b32 off, v14, s15 offset:-4
	s_cbranch_scc1 .LBB0_35
; %bb.31:                               ;   in Loop: Header=BB0_30 Depth=1
	s_wait_xcnt 0x0
	s_lshr_b32 s15, s0, 1
	s_delay_alu instid0(SALU_CYCLE_1) | instskip(NEXT) | instid1(SALU_CYCLE_1)
	s_and_b32 s15, s15, 0x7ffffff8
	s_addk_co_i32 s15, 0x220
	s_cmp_lt_i32 s14, 1
	scratch_load_b64 v[14:15], off, s15
	s_cbranch_scc1 .LBB0_34
; %bb.32:                               ;   in Loop: Header=BB0_30 Depth=1
	s_wait_xcnt 0x0
	s_movk_i32 s15, 0x230
	s_mov_b32 s16, s13
.LBB0_33:                               ;   Parent Loop BB0_30 Depth=1
                                        ; =>  This Inner Loop Header: Depth=2
	scratch_load_b64 v[16:17], off, s15
	s_add_co_i32 s16, s16, -1
	s_wait_loadcnt 0x0
	v_mul_f64_e32 v[16:17], v[14:15], v[16:17]
	scratch_store_b64 off, v[16:17], s15
	s_wait_xcnt 0x0
	s_add_co_i32 s15, s15, 8
	s_cmp_eq_u32 s16, 0
	s_cbranch_scc0 .LBB0_33
.LBB0_34:                               ;   in Loop: Header=BB0_30 Depth=1
	s_wait_loadcnt 0x0
	v_mul_f64_e32 v[12:13], v[12:13], v[14:15]
.LBB0_35:                               ;   in Loop: Header=BB0_30 Depth=1
	s_cmp_lt_i32 s14, 1
	s_cbranch_scc1 .LBB0_39
; %bb.36:                               ;   in Loop: Header=BB0_30 Depth=1
	s_wait_xcnt 0x0
	v_add_nc_u64_e32 v[14:15], s[0:1], v[0:1]
	s_delay_alu instid0(VALU_DEP_2)
	v_mul_f64_e32 v[16:17], s[10:11], v[12:13]
	v_mov_b64_e32 v[18:19], v[8:9]
	s_lshl_b32 s14, s13, 3
	s_movk_i32 s15, 0x230
	s_add_co_i32 s14, s9, s14
	global_load_u8 v14, v[14:15], off
	s_wait_loadcnt 0x0
	v_mul_lo_u32 v20, s6, v14
	s_wait_xcnt 0x0
	v_mov_b64_e32 v[14:15], 0
.LBB0_37:                               ;   Parent Loop BB0_30 Depth=1
                                        ; =>  This Inner Loop Header: Depth=2
	global_load_u8 v21, v[18:19], off
	s_wait_xcnt 0x0
	v_add_nc_u64_e32 v[18:19], -1, v[18:19]
	s_add_co_i32 s13, s13, -1
	s_wait_loadcnt 0x0
	v_add_nc_u32_e32 v21, v20, v21
	scratch_load_b64 v[22:23], off, s15
	global_load_b64 v[24:25], v21, s[2:3] scale_offset
	scratch_load_b64 v[26:27], off, s14
	s_wait_xcnt 0x0
	s_add_co_i32 s14, s14, -8
	s_wait_loadcnt 0x1
	v_mul_f64_e32 v[22:23], v[22:23], v[24:25]
	s_delay_alu instid0(VALU_DEP_1)
	v_fma_f64 v[24:25], v[4:5], v[22:23], v[16:17]
	s_wait_loadcnt 0x0
	v_fmac_f64_e32 v[14:15], v[26:27], v[22:23]
	scratch_store_b64 off, v[24:25], s15
	s_wait_xcnt 0x0
	s_add_co_i32 s15, s15, 8
	s_cmp_eq_u32 s13, 0
	s_cbranch_scc0 .LBB0_37
; %bb.38:                               ;   in Loop: Header=BB0_30 Depth=1
	v_mov_b64_e32 v[16:17], 1.0
	s_cmp_le_i32 s0, s7
	s_cbranch_scc0 .LBB0_29
	s_branch .LBB0_40
.LBB0_39:                               ;   in Loop: Header=BB0_30 Depth=1
	s_wait_xcnt 0x0
	v_mov_b64_e32 v[14:15], 0
	v_mov_b64_e32 v[16:17], 1.0
	s_cmp_le_i32 s0, s7
	s_cbranch_scc0 .LBB0_29
.LBB0_40:                               ;   in Loop: Header=BB0_30 Depth=1
	s_sub_co_i32 s13, s7, s12
	s_delay_alu instid0(SALU_CYCLE_1) | instskip(NEXT) | instid1(SALU_CYCLE_1)
	s_lshl_b32 s13, s13, 3
	s_addk_co_i32 s13, 0x90
	scratch_load_b64 v[16:17], off, s13 offset:8
	s_wait_loadcnt 0x0
	v_mul_f64_e32 v[16:17], v[6:7], v[16:17]
	s_branch .LBB0_29
.LBB0_41:
	s_mov_b32 s0, 0
	s_mov_b32 s1, 0
	s_branch .LBB0_43
.LBB0_42:                               ;   in Loop: Header=BB0_43 Depth=1
	s_wait_xcnt 0x0
	s_or_b32 exec_lo, exec_lo, s2
	v_add_nc_u64_e32 v[0:1], 1, v[0:1]
	s_add_co_i32 s6, s6, -1
	s_add_co_i32 s0, s0, 4
	s_cmp_lg_u32 s6, 0
	s_cbranch_scc0 .LBB0_45
.LBB0_43:                               ; =>This Inner Loop Header: Depth=1
	scratch_load_b32 v2, off, s0
	s_mov_b32 s2, exec_lo
	s_wait_loadcnt 0x0
	v_cmpx_le_f32_e32 0.5, v2
	s_cbranch_execz .LBB0_42
; %bb.44:                               ;   in Loop: Header=BB0_43 Depth=1
	global_load_u8 v2, v[0:1], off
	v_mov_b32_e32 v3, s1
	s_wait_loadcnt 0x0
	v_and_b32_e32 v2, 0xffff, v2
	s_wait_kmcnt 0x0
	s_delay_alu instid0(VALU_DEP_1)
	v_add_nc_u64_e32 v[2:3], s[4:5], v[2:3]
	global_load_u8 v2, v[2:3], off
	s_wait_loadcnt 0x0
	global_store_b8 v[0:1], v2, off
	s_branch .LBB0_42
.LBB0_45:
	s_endpgm
.LBB0_46:
                                        ; implicit-def: $vgpr4_vgpr5
	s_branch .LBB0_3
	.section	.rodata,"a",@progbits
	.p2align	6, 0x0
	.amdhsa_kernel _Z13maskSequencesPhPKdPKhiiddddddi
		.amdhsa_group_segment_fixed_size 0
		.amdhsa_private_segment_fixed_size 976
		.amdhsa_kernarg_size 344
		.amdhsa_user_sgpr_count 2
		.amdhsa_user_sgpr_dispatch_ptr 0
		.amdhsa_user_sgpr_queue_ptr 0
		.amdhsa_user_sgpr_kernarg_segment_ptr 1
		.amdhsa_user_sgpr_dispatch_id 0
		.amdhsa_user_sgpr_kernarg_preload_length 0
		.amdhsa_user_sgpr_kernarg_preload_offset 0
		.amdhsa_user_sgpr_private_segment_size 0
		.amdhsa_wavefront_size32 1
		.amdhsa_uses_dynamic_stack 0
		.amdhsa_enable_private_segment 1
		.amdhsa_system_sgpr_workgroup_id_x 1
		.amdhsa_system_sgpr_workgroup_id_y 0
		.amdhsa_system_sgpr_workgroup_id_z 0
		.amdhsa_system_sgpr_workgroup_info 0
		.amdhsa_system_vgpr_workitem_id 0
		.amdhsa_next_free_vgpr 28
		.amdhsa_next_free_sgpr 24
		.amdhsa_named_barrier_count 0
		.amdhsa_reserve_vcc 1
		.amdhsa_float_round_mode_32 0
		.amdhsa_float_round_mode_16_64 0
		.amdhsa_float_denorm_mode_32 3
		.amdhsa_float_denorm_mode_16_64 3
		.amdhsa_fp16_overflow 0
		.amdhsa_memory_ordered 1
		.amdhsa_forward_progress 1
		.amdhsa_inst_pref_size 30
		.amdhsa_round_robin_scheduling 0
		.amdhsa_exception_fp_ieee_invalid_op 0
		.amdhsa_exception_fp_denorm_src 0
		.amdhsa_exception_fp_ieee_div_zero 0
		.amdhsa_exception_fp_ieee_overflow 0
		.amdhsa_exception_fp_ieee_underflow 0
		.amdhsa_exception_fp_ieee_inexact 0
		.amdhsa_exception_int_div_zero 0
	.end_amdhsa_kernel
	.text
.Lfunc_end0:
	.size	_Z13maskSequencesPhPKdPKhiiddddddi, .Lfunc_end0-_Z13maskSequencesPhPKdPKhiiddddddi
                                        ; -- End function
	.set _Z13maskSequencesPhPKdPKhiiddddddi.num_vgpr, 28
	.set _Z13maskSequencesPhPKdPKhiiddddddi.num_agpr, 0
	.set _Z13maskSequencesPhPKdPKhiiddddddi.numbered_sgpr, 24
	.set _Z13maskSequencesPhPKdPKhiiddddddi.num_named_barrier, 0
	.set _Z13maskSequencesPhPKdPKhiiddddddi.private_seg_size, 976
	.set _Z13maskSequencesPhPKdPKhiiddddddi.uses_vcc, 1
	.set _Z13maskSequencesPhPKdPKhiiddddddi.uses_flat_scratch, 0
	.set _Z13maskSequencesPhPKdPKhiiddddddi.has_dyn_sized_stack, 0
	.set _Z13maskSequencesPhPKdPKhiiddddddi.has_recursion, 0
	.set _Z13maskSequencesPhPKdPKhiiddddddi.has_indirect_call, 0
	.section	.AMDGPU.csdata,"",@progbits
; Kernel info:
; codeLenInByte = 3740
; TotalNumSgprs: 26
; NumVgprs: 28
; ScratchSize: 976
; MemoryBound: 0
; FloatMode: 240
; IeeeMode: 1
; LDSByteSize: 0 bytes/workgroup (compile time only)
; SGPRBlocks: 0
; VGPRBlocks: 1
; NumSGPRsForWavesPerEU: 26
; NumVGPRsForWavesPerEU: 28
; NamedBarCnt: 0
; Occupancy: 16
; WaveLimiterHint : 1
; COMPUTE_PGM_RSRC2:SCRATCH_EN: 1
; COMPUTE_PGM_RSRC2:USER_SGPR: 2
; COMPUTE_PGM_RSRC2:TRAP_HANDLER: 0
; COMPUTE_PGM_RSRC2:TGID_X_EN: 1
; COMPUTE_PGM_RSRC2:TGID_Y_EN: 0
; COMPUTE_PGM_RSRC2:TGID_Z_EN: 0
; COMPUTE_PGM_RSRC2:TIDIG_COMP_CNT: 0
	.text
	.p2alignl 7, 3214868480
	.fill 96, 4, 3214868480
	.section	.AMDGPU.gpr_maximums,"",@progbits
	.set amdgpu.max_num_vgpr, 0
	.set amdgpu.max_num_agpr, 0
	.set amdgpu.max_num_sgpr, 0
	.text
	.protected	_ZN7Masking8bit_maskE   ; @_ZN7Masking8bit_maskE
	.type	_ZN7Masking8bit_maskE,@object
	.section	.rodata,"a",@progbits
	.globl	_ZN7Masking8bit_maskE
_ZN7Masking8bit_maskE:
	.byte	128                             ; 0x80
	.size	_ZN7Masking8bit_maskE, 1

	.type	__hip_cuid_7c7341197e14d47b,@object ; @__hip_cuid_7c7341197e14d47b
	.section	.bss,"aw",@nobits
	.globl	__hip_cuid_7c7341197e14d47b
__hip_cuid_7c7341197e14d47b:
	.byte	0                               ; 0x0
	.size	__hip_cuid_7c7341197e14d47b, 1

	.ident	"AMD clang version 22.0.0git (https://github.com/RadeonOpenCompute/llvm-project roc-7.2.4 26084 f58b06dce1f9c15707c5f808fd002e18c2accf7e)"
	.section	".note.GNU-stack","",@progbits
	.addrsig
	.addrsig_sym __hip_cuid_7c7341197e14d47b
	.amdgpu_metadata
---
amdhsa.kernels:
  - .args:
      - .address_space:  global
        .offset:         0
        .size:           8
        .value_kind:     global_buffer
      - .actual_access:  read_only
        .address_space:  global
        .offset:         8
        .size:           8
        .value_kind:     global_buffer
      - .actual_access:  read_only
        .address_space:  global
        .offset:         16
        .size:           8
        .value_kind:     global_buffer
      - .offset:         24
        .size:           4
        .value_kind:     by_value
      - .offset:         28
        .size:           4
        .value_kind:     by_value
      - .offset:         32
        .size:           8
        .value_kind:     by_value
      - .offset:         40
        .size:           8
        .value_kind:     by_value
      - .offset:         48
        .size:           8
        .value_kind:     by_value
      - .offset:         56
        .size:           8
        .value_kind:     by_value
      - .offset:         64
        .size:           8
        .value_kind:     by_value
      - .offset:         72
        .size:           8
        .value_kind:     by_value
      - .offset:         80
        .size:           4
        .value_kind:     by_value
      - .offset:         88
        .size:           4
        .value_kind:     hidden_block_count_x
      - .offset:         92
        .size:           4
        .value_kind:     hidden_block_count_y
      - .offset:         96
        .size:           4
        .value_kind:     hidden_block_count_z
      - .offset:         100
        .size:           2
        .value_kind:     hidden_group_size_x
      - .offset:         102
        .size:           2
        .value_kind:     hidden_group_size_y
      - .offset:         104
        .size:           2
        .value_kind:     hidden_group_size_z
      - .offset:         106
        .size:           2
        .value_kind:     hidden_remainder_x
      - .offset:         108
        .size:           2
        .value_kind:     hidden_remainder_y
      - .offset:         110
        .size:           2
        .value_kind:     hidden_remainder_z
      - .offset:         128
        .size:           8
        .value_kind:     hidden_global_offset_x
      - .offset:         136
        .size:           8
        .value_kind:     hidden_global_offset_y
      - .offset:         144
        .size:           8
        .value_kind:     hidden_global_offset_z
      - .offset:         152
        .size:           2
        .value_kind:     hidden_grid_dims
    .group_segment_fixed_size: 0
    .kernarg_segment_align: 8
    .kernarg_segment_size: 344
    .language:       OpenCL C
    .language_version:
      - 2
      - 0
    .max_flat_workgroup_size: 1024
    .name:           _Z13maskSequencesPhPKdPKhiiddddddi
    .private_segment_fixed_size: 976
    .sgpr_count:     26
    .sgpr_spill_count: 0
    .symbol:         _Z13maskSequencesPhPKdPKhiiddddddi.kd
    .uniform_work_group_size: 1
    .uses_dynamic_stack: false
    .vgpr_count:     28
    .vgpr_spill_count: 0
    .wavefront_size: 32
amdhsa.target:   amdgcn-amd-amdhsa--gfx1250
amdhsa.version:
  - 1
  - 2
...

	.end_amdgpu_metadata
